;; amdgpu-corpus repo=ROCm/rocFFT kind=compiled arch=gfx906 opt=O3
	.text
	.amdgcn_target "amdgcn-amd-amdhsa--gfx906"
	.amdhsa_code_object_version 6
	.protected	fft_rtc_fwd_len198_factors_11_2_9_wgs_110_tpt_22_dp_op_CI_CI_sbrr_dirReg ; -- Begin function fft_rtc_fwd_len198_factors_11_2_9_wgs_110_tpt_22_dp_op_CI_CI_sbrr_dirReg
	.globl	fft_rtc_fwd_len198_factors_11_2_9_wgs_110_tpt_22_dp_op_CI_CI_sbrr_dirReg
	.p2align	8
	.type	fft_rtc_fwd_len198_factors_11_2_9_wgs_110_tpt_22_dp_op_CI_CI_sbrr_dirReg,@function
fft_rtc_fwd_len198_factors_11_2_9_wgs_110_tpt_22_dp_op_CI_CI_sbrr_dirReg: ; @fft_rtc_fwd_len198_factors_11_2_9_wgs_110_tpt_22_dp_op_CI_CI_sbrr_dirReg
; %bb.0:
	s_load_dwordx4 s[16:19], s[4:5], 0x18
	s_load_dwordx4 s[12:15], s[4:5], 0x0
	;; [unrolled: 1-line block ×3, first 2 shown]
	v_mul_u32_u24_e32 v1, 0xba3, v0
	v_lshrrev_b32_e32 v1, 16, v1
	v_mad_u64_u32 v[56:57], s[0:1], s6, 5, v[1:2]
	s_waitcnt lgkmcnt(0)
	s_load_dwordx2 s[2:3], s[16:17], 0x0
	s_load_dwordx2 s[20:21], s[18:19], 0x0
	v_mov_b32_e32 v1, 0
	v_mov_b32_e32 v3, 0
	v_cmp_lt_u64_e64 s[0:1], s[14:15], 2
	v_mov_b32_e32 v2, 0
	v_mov_b32_e32 v57, v3
	;; [unrolled: 1-line block ×4, first 2 shown]
	s_and_b64 vcc, exec, s[0:1]
	v_mov_b32_e32 v52, v1
	v_mov_b32_e32 v55, v57
	s_cbranch_vccnz .LBB0_8
; %bb.1:
	s_load_dwordx2 s[0:1], s[4:5], 0x10
	s_add_u32 s6, s18, 8
	s_addc_u32 s7, s19, 0
	s_add_u32 s22, s16, 8
	v_mov_b32_e32 v1, 0
	s_addc_u32 s23, s17, 0
	v_mov_b32_e32 v2, 0
	s_waitcnt lgkmcnt(0)
	s_add_u32 s24, s0, 8
	v_mov_b32_e32 v53, v2
	v_mov_b32_e32 v5, v56
	s_addc_u32 s25, s1, 0
	s_mov_b64 s[26:27], 1
	v_mov_b32_e32 v52, v1
	v_mov_b32_e32 v6, v57
.LBB0_2:                                ; =>This Inner Loop Header: Depth=1
	s_load_dwordx2 s[28:29], s[24:25], 0x0
                                        ; implicit-def: $vgpr54_vgpr55
	s_waitcnt lgkmcnt(0)
	v_or_b32_e32 v4, s29, v6
	v_cmp_ne_u64_e32 vcc, 0, v[3:4]
	s_and_saveexec_b64 s[0:1], vcc
	s_xor_b64 s[30:31], exec, s[0:1]
	s_cbranch_execz .LBB0_4
; %bb.3:                                ;   in Loop: Header=BB0_2 Depth=1
	v_cvt_f32_u32_e32 v4, s28
	v_cvt_f32_u32_e32 v7, s29
	s_sub_u32 s0, 0, s28
	s_subb_u32 s1, 0, s29
	v_mac_f32_e32 v4, 0x4f800000, v7
	v_rcp_f32_e32 v4, v4
	v_mul_f32_e32 v4, 0x5f7ffffc, v4
	v_mul_f32_e32 v7, 0x2f800000, v4
	v_trunc_f32_e32 v7, v7
	v_mac_f32_e32 v4, 0xcf800000, v7
	v_cvt_u32_f32_e32 v7, v7
	v_cvt_u32_f32_e32 v4, v4
	v_mul_lo_u32 v8, s0, v7
	v_mul_hi_u32 v9, s0, v4
	v_mul_lo_u32 v11, s1, v4
	v_mul_lo_u32 v10, s0, v4
	v_add_u32_e32 v8, v9, v8
	v_add_u32_e32 v8, v8, v11
	v_mul_hi_u32 v9, v4, v10
	v_mul_lo_u32 v11, v4, v8
	v_mul_hi_u32 v13, v4, v8
	v_mul_hi_u32 v12, v7, v10
	v_mul_lo_u32 v10, v7, v10
	v_mul_hi_u32 v14, v7, v8
	v_add_co_u32_e32 v9, vcc, v9, v11
	v_addc_co_u32_e32 v11, vcc, 0, v13, vcc
	v_mul_lo_u32 v8, v7, v8
	v_add_co_u32_e32 v9, vcc, v9, v10
	v_addc_co_u32_e32 v9, vcc, v11, v12, vcc
	v_addc_co_u32_e32 v10, vcc, 0, v14, vcc
	v_add_co_u32_e32 v8, vcc, v9, v8
	v_addc_co_u32_e32 v9, vcc, 0, v10, vcc
	v_add_co_u32_e32 v4, vcc, v4, v8
	v_addc_co_u32_e32 v7, vcc, v7, v9, vcc
	v_mul_lo_u32 v8, s0, v7
	v_mul_hi_u32 v9, s0, v4
	v_mul_lo_u32 v10, s1, v4
	v_mul_lo_u32 v11, s0, v4
	v_add_u32_e32 v8, v9, v8
	v_add_u32_e32 v8, v8, v10
	v_mul_lo_u32 v12, v4, v8
	v_mul_hi_u32 v13, v4, v11
	v_mul_hi_u32 v14, v4, v8
	;; [unrolled: 1-line block ×3, first 2 shown]
	v_mul_lo_u32 v11, v7, v11
	v_mul_hi_u32 v9, v7, v8
	v_add_co_u32_e32 v12, vcc, v13, v12
	v_addc_co_u32_e32 v13, vcc, 0, v14, vcc
	v_mul_lo_u32 v8, v7, v8
	v_add_co_u32_e32 v11, vcc, v12, v11
	v_addc_co_u32_e32 v10, vcc, v13, v10, vcc
	v_addc_co_u32_e32 v9, vcc, 0, v9, vcc
	v_add_co_u32_e32 v8, vcc, v10, v8
	v_addc_co_u32_e32 v9, vcc, 0, v9, vcc
	v_add_co_u32_e32 v4, vcc, v4, v8
	v_addc_co_u32_e32 v9, vcc, v7, v9, vcc
	v_mad_u64_u32 v[7:8], s[0:1], v5, v9, 0
	v_mul_hi_u32 v10, v5, v4
	v_add_co_u32_e32 v11, vcc, v10, v7
	v_addc_co_u32_e32 v12, vcc, 0, v8, vcc
	v_mad_u64_u32 v[7:8], s[0:1], v6, v4, 0
	v_mad_u64_u32 v[9:10], s[0:1], v6, v9, 0
	v_add_co_u32_e32 v4, vcc, v11, v7
	v_addc_co_u32_e32 v4, vcc, v12, v8, vcc
	v_addc_co_u32_e32 v7, vcc, 0, v10, vcc
	v_add_co_u32_e32 v4, vcc, v4, v9
	v_addc_co_u32_e32 v9, vcc, 0, v7, vcc
	v_mul_lo_u32 v10, s29, v4
	v_mul_lo_u32 v11, s28, v9
	v_mad_u64_u32 v[7:8], s[0:1], s28, v4, 0
	v_add3_u32 v8, v8, v11, v10
	v_sub_u32_e32 v10, v6, v8
	v_mov_b32_e32 v11, s29
	v_sub_co_u32_e32 v7, vcc, v5, v7
	v_subb_co_u32_e64 v10, s[0:1], v10, v11, vcc
	v_subrev_co_u32_e64 v11, s[0:1], s28, v7
	v_subbrev_co_u32_e64 v10, s[0:1], 0, v10, s[0:1]
	v_cmp_le_u32_e64 s[0:1], s29, v10
	v_cndmask_b32_e64 v12, 0, -1, s[0:1]
	v_cmp_le_u32_e64 s[0:1], s28, v11
	v_cndmask_b32_e64 v11, 0, -1, s[0:1]
	v_cmp_eq_u32_e64 s[0:1], s29, v10
	v_cndmask_b32_e64 v10, v12, v11, s[0:1]
	v_add_co_u32_e64 v11, s[0:1], 2, v4
	v_addc_co_u32_e64 v12, s[0:1], 0, v9, s[0:1]
	v_add_co_u32_e64 v13, s[0:1], 1, v4
	v_addc_co_u32_e64 v14, s[0:1], 0, v9, s[0:1]
	v_subb_co_u32_e32 v8, vcc, v6, v8, vcc
	v_cmp_ne_u32_e64 s[0:1], 0, v10
	v_cmp_le_u32_e32 vcc, s29, v8
	v_cndmask_b32_e64 v10, v14, v12, s[0:1]
	v_cndmask_b32_e64 v12, 0, -1, vcc
	v_cmp_le_u32_e32 vcc, s28, v7
	v_cndmask_b32_e64 v7, 0, -1, vcc
	v_cmp_eq_u32_e32 vcc, s29, v8
	v_cndmask_b32_e32 v7, v12, v7, vcc
	v_cmp_ne_u32_e32 vcc, 0, v7
	v_cndmask_b32_e64 v7, v13, v11, s[0:1]
	v_cndmask_b32_e32 v55, v9, v10, vcc
	v_cndmask_b32_e32 v54, v4, v7, vcc
.LBB0_4:                                ;   in Loop: Header=BB0_2 Depth=1
	s_andn2_saveexec_b64 s[0:1], s[30:31]
	s_cbranch_execz .LBB0_6
; %bb.5:                                ;   in Loop: Header=BB0_2 Depth=1
	v_cvt_f32_u32_e32 v4, s28
	s_sub_i32 s30, 0, s28
	v_mov_b32_e32 v55, v3
	v_rcp_iflag_f32_e32 v4, v4
	v_mul_f32_e32 v4, 0x4f7ffffe, v4
	v_cvt_u32_f32_e32 v4, v4
	v_mul_lo_u32 v7, s30, v4
	v_mul_hi_u32 v7, v4, v7
	v_add_u32_e32 v4, v4, v7
	v_mul_hi_u32 v4, v5, v4
	v_mul_lo_u32 v7, v4, s28
	v_add_u32_e32 v8, 1, v4
	v_sub_u32_e32 v7, v5, v7
	v_subrev_u32_e32 v9, s28, v7
	v_cmp_le_u32_e32 vcc, s28, v7
	v_cndmask_b32_e32 v7, v7, v9, vcc
	v_cndmask_b32_e32 v4, v4, v8, vcc
	v_add_u32_e32 v8, 1, v4
	v_cmp_le_u32_e32 vcc, s28, v7
	v_cndmask_b32_e32 v54, v4, v8, vcc
.LBB0_6:                                ;   in Loop: Header=BB0_2 Depth=1
	s_or_b64 exec, exec, s[0:1]
	v_mul_lo_u32 v4, v55, s28
	v_mul_lo_u32 v9, v54, s29
	v_mad_u64_u32 v[7:8], s[0:1], v54, s28, 0
	s_load_dwordx2 s[0:1], s[22:23], 0x0
	s_load_dwordx2 s[28:29], s[6:7], 0x0
	v_add3_u32 v4, v8, v9, v4
	v_sub_co_u32_e32 v5, vcc, v5, v7
	v_subb_co_u32_e32 v4, vcc, v6, v4, vcc
	s_waitcnt lgkmcnt(0)
	v_mul_lo_u32 v6, s0, v4
	v_mul_lo_u32 v7, s1, v5
	v_mad_u64_u32 v[1:2], s[0:1], s0, v5, v[1:2]
	v_mul_lo_u32 v4, s28, v4
	v_mul_lo_u32 v8, s29, v5
	v_mad_u64_u32 v[52:53], s[0:1], s28, v5, v[52:53]
	s_add_u32 s26, s26, 1
	s_addc_u32 s27, s27, 0
	s_add_u32 s6, s6, 8
	v_add3_u32 v53, v8, v53, v4
	s_addc_u32 s7, s7, 0
	v_mov_b32_e32 v4, s14
	s_add_u32 s22, s22, 8
	v_mov_b32_e32 v5, s15
	s_addc_u32 s23, s23, 0
	v_cmp_ge_u64_e32 vcc, s[26:27], v[4:5]
	s_add_u32 s24, s24, 8
	v_add3_u32 v2, v7, v2, v6
	s_addc_u32 s25, s25, 0
	s_cbranch_vccnz .LBB0_8
; %bb.7:                                ;   in Loop: Header=BB0_2 Depth=1
	v_mov_b32_e32 v5, v54
	v_mov_b32_e32 v6, v55
	s_branch .LBB0_2
.LBB0_8:
	s_lshl_b64 s[22:23], s[14:15], 3
	s_load_dwordx2 s[0:1], s[4:5], 0x28
	s_add_u32 s4, s18, s22
	s_mov_b32 s5, 0xba2e8bb
	v_mul_hi_u32 v3, v0, s5
	s_addc_u32 s5, s19, s23
	s_load_dwordx2 s[4:5], s[4:5], 0x0
	s_waitcnt lgkmcnt(0)
	v_cmp_gt_u64_e32 vcc, s[0:1], v[54:55]
	v_mul_u32_u24_e32 v3, 22, v3
	v_sub_u32_e32 v138, v0, v3
	v_mov_b32_e32 v137, 0
                                        ; implicit-def: $vgpr10_vgpr11
                                        ; implicit-def: $vgpr14_vgpr15
                                        ; implicit-def: $vgpr18_vgpr19
                                        ; implicit-def: $vgpr26_vgpr27
                                        ; implicit-def: $vgpr30_vgpr31
                                        ; implicit-def: $vgpr34_vgpr35
                                        ; implicit-def: $vgpr38_vgpr39
                                        ; implicit-def: $vgpr42_vgpr43
                                        ; implicit-def: $vgpr46_vgpr47
                                        ; implicit-def: $vgpr50_vgpr51
                                        ; implicit-def: $vgpr22_vgpr23
	s_and_saveexec_b64 s[6:7], vcc
	s_cbranch_execz .LBB0_12
; %bb.9:
	v_cmp_gt_u32_e64 s[0:1], 18, v138
                                        ; implicit-def: $vgpr20_vgpr21
                                        ; implicit-def: $vgpr48_vgpr49
                                        ; implicit-def: $vgpr44_vgpr45
                                        ; implicit-def: $vgpr40_vgpr41
                                        ; implicit-def: $vgpr36_vgpr37
                                        ; implicit-def: $vgpr32_vgpr33
                                        ; implicit-def: $vgpr28_vgpr29
                                        ; implicit-def: $vgpr24_vgpr25
                                        ; implicit-def: $vgpr16_vgpr17
                                        ; implicit-def: $vgpr12_vgpr13
                                        ; implicit-def: $vgpr8_vgpr9
	s_and_saveexec_b64 s[14:15], s[0:1]
	s_cbranch_execz .LBB0_11
; %bb.10:
	s_add_u32 s0, s16, s22
	s_addc_u32 s1, s17, s23
	s_load_dwordx2 s[0:1], s[0:1], 0x0
	v_mad_u64_u32 v[3:4], s[16:17], s2, v138, 0
	v_add_u32_e32 v12, 0x48, v138
	v_add_u32_e32 v16, 0x6c, v138
	s_waitcnt lgkmcnt(0)
	v_mul_lo_u32 v9, s1, v54
	v_mul_lo_u32 v10, s0, v55
	v_mad_u64_u32 v[5:6], s[0:1], s0, v54, 0
	v_mov_b32_e32 v0, v4
	v_mad_u64_u32 v[7:8], s[0:1], s3, v138, v[0:1]
	v_add3_u32 v6, v6, v10, v9
	v_lshlrev_b64 v[5:6], 4, v[5:6]
	v_mov_b32_e32 v4, v7
	v_mov_b32_e32 v0, s9
	v_add_co_u32_e64 v7, s[0:1], s8, v5
	v_add_u32_e32 v9, 18, v138
	v_addc_co_u32_e64 v8, s[0:1], v0, v6, s[0:1]
	v_mad_u64_u32 v[5:6], s[0:1], s2, v9, 0
	v_lshlrev_b64 v[0:1], 4, v[1:2]
	v_add_u32_e32 v10, 54, v138
	v_add_co_u32_e64 v14, s[0:1], v7, v0
	v_mov_b32_e32 v2, v6
	v_addc_co_u32_e64 v15, s[0:1], v8, v1, s[0:1]
	v_lshlrev_b64 v[0:1], 4, v[3:4]
	v_mad_u64_u32 v[2:3], s[0:1], s3, v9, v[2:3]
	v_add_u32_e32 v7, 36, v138
	v_mad_u64_u32 v[3:4], s[0:1], s2, v7, 0
	v_add_co_u32_e64 v0, s[0:1], v14, v0
	v_mov_b32_e32 v6, v2
	v_mov_b32_e32 v2, v4
	v_addc_co_u32_e64 v1, s[0:1], v15, v1, s[0:1]
	v_mad_u64_u32 v[7:8], s[0:1], s3, v7, v[2:3]
	v_mad_u64_u32 v[8:9], s[0:1], s2, v10, 0
	v_lshlrev_b64 v[5:6], 4, v[5:6]
	v_mov_b32_e32 v4, v7
	v_add_co_u32_e64 v5, s[0:1], v14, v5
	v_lshlrev_b64 v[2:3], 4, v[3:4]
	v_mov_b32_e32 v4, v9
	v_addc_co_u32_e64 v6, s[0:1], v15, v6, s[0:1]
	v_mad_u64_u32 v[9:10], s[0:1], s3, v10, v[4:5]
	v_mad_u64_u32 v[10:11], s[0:1], s2, v12, 0
	v_add_co_u32_e64 v2, s[0:1], v14, v2
	v_mov_b32_e32 v4, v11
	v_addc_co_u32_e64 v3, s[0:1], v15, v3, s[0:1]
	v_lshlrev_b64 v[7:8], 4, v[8:9]
	v_mad_u64_u32 v[11:12], s[0:1], s3, v12, v[4:5]
	v_add_u32_e32 v9, 0x5a, v138
	v_mad_u64_u32 v[12:13], s[0:1], s2, v9, 0
	v_add_co_u32_e64 v57, s[0:1], v14, v7
	v_mov_b32_e32 v4, v13
	v_addc_co_u32_e64 v58, s[0:1], v15, v8, s[0:1]
	v_lshlrev_b64 v[7:8], 4, v[10:11]
	v_mad_u64_u32 v[9:10], s[0:1], s3, v9, v[4:5]
	v_mad_u64_u32 v[10:11], s[0:1], s2, v16, 0
	v_add_co_u32_e64 v59, s[0:1], v14, v7
	v_mov_b32_e32 v13, v9
	v_mov_b32_e32 v4, v11
	v_addc_co_u32_e64 v60, s[0:1], v15, v8, s[0:1]
	v_lshlrev_b64 v[7:8], 4, v[12:13]
	v_mad_u64_u32 v[11:12], s[0:1], s3, v16, v[4:5]
	v_add_u32_e32 v9, 0x7e, v138
	v_mad_u64_u32 v[12:13], s[0:1], s2, v9, 0
	v_add_co_u32_e64 v61, s[0:1], v14, v7
	v_mov_b32_e32 v4, v13
	v_addc_co_u32_e64 v62, s[0:1], v15, v8, s[0:1]
	v_lshlrev_b64 v[7:8], 4, v[10:11]
	v_mad_u64_u32 v[9:10], s[0:1], s3, v9, v[4:5]
	v_add_u32_e32 v16, 0x90, v138
	v_mad_u64_u32 v[10:11], s[0:1], s2, v16, 0
	v_add_co_u32_e64 v63, s[0:1], v14, v7
	v_mov_b32_e32 v13, v9
	v_mov_b32_e32 v4, v11
	v_addc_co_u32_e64 v64, s[0:1], v15, v8, s[0:1]
	v_lshlrev_b64 v[7:8], 4, v[12:13]
	v_mad_u64_u32 v[11:12], s[0:1], s3, v16, v[4:5]
	v_add_u32_e32 v9, 0xa2, v138
	v_mad_u64_u32 v[12:13], s[0:1], s2, v9, 0
	v_add_co_u32_e64 v65, s[0:1], v14, v7
	v_mov_b32_e32 v4, v13
	v_addc_co_u32_e64 v66, s[0:1], v15, v8, s[0:1]
	v_lshlrev_b64 v[7:8], 4, v[10:11]
	v_mad_u64_u32 v[9:10], s[0:1], s3, v9, v[4:5]
	v_add_u32_e32 v16, 0xb4, v138
	v_mad_u64_u32 v[10:11], s[0:1], s2, v16, 0
	v_add_co_u32_e64 v67, s[0:1], v14, v7
	v_mov_b32_e32 v13, v9
	v_mov_b32_e32 v4, v11
	v_addc_co_u32_e64 v68, s[0:1], v15, v8, s[0:1]
	v_lshlrev_b64 v[7:8], 4, v[12:13]
	v_mad_u64_u32 v[11:12], s[0:1], s3, v16, v[4:5]
	v_add_co_u32_e64 v69, s[0:1], v14, v7
	v_addc_co_u32_e64 v70, s[0:1], v15, v8, s[0:1]
	v_lshlrev_b64 v[7:8], 4, v[10:11]
	v_add_co_u32_e64 v71, s[0:1], v14, v7
	v_addc_co_u32_e64 v72, s[0:1], v15, v8, s[0:1]
	global_load_dwordx4 v[20:23], v[0:1], off
	global_load_dwordx4 v[48:51], v[5:6], off
	;; [unrolled: 1-line block ×11, first 2 shown]
.LBB0_11:
	s_or_b64 exec, exec, s[14:15]
	v_mov_b32_e32 v137, v138
.LBB0_12:
	s_or_b64 exec, exec, s[6:7]
	s_waitcnt vmcnt(0)
	v_add_f64 v[57:58], v[8:9], v[48:49]
	v_add_f64 v[87:88], v[48:49], -v[8:9]
	s_mov_b32 s6, 0xd9c712b6
	s_mov_b32 s8, 0x8eee2c13
	;; [unrolled: 1-line block ×8, first 2 shown]
	v_add_f64 v[59:60], v[50:51], -v[10:11]
	v_add_f64 v[61:62], v[12:13], v[44:45]
	v_mul_f64 v[95:96], v[57:58], s[6:7]
	v_add_f64 v[65:66], v[10:11], v[50:51]
	v_mul_f64 v[99:100], v[87:88], s[8:9]
	v_add_f64 v[71:72], v[44:45], -v[12:13]
	v_mul_f64 v[117:118], v[57:58], s[22:23]
	v_mul_f64 v[129:130], v[87:88], s[24:25]
	s_mov_b32 s2, 0x7f775887
	s_mov_b32 s16, 0xbb3a28a1
	;; [unrolled: 1-line block ×8, first 2 shown]
	v_add_f64 v[63:64], v[46:47], -v[14:15]
	v_mul_f64 v[91:92], v[61:62], s[2:3]
	v_fma_f64 v[0:1], v[59:60], s[8:9], v[95:96]
	v_fma_f64 v[2:3], v[65:66], s[6:7], -v[99:100]
	v_add_f64 v[67:68], v[14:15], v[46:47]
	v_mul_f64 v[101:102], v[71:72], s[16:17]
	v_add_f64 v[69:70], v[16:17], v[40:41]
	v_add_f64 v[81:82], v[40:41], -v[16:17]
	v_fma_f64 v[103:104], v[59:60], s[24:25], v[117:118]
	v_mul_f64 v[123:124], v[61:62], s[14:15]
	v_fma_f64 v[109:110], v[65:66], s[22:23], -v[129:130]
	v_mul_f64 v[133:134], v[71:72], s[18:19]
	s_mov_b32 s37, 0x3fed1bb4
	s_mov_b32 s36, s8
	v_fma_f64 v[4:5], v[63:64], s[16:17], v[91:92]
	v_add_f64 v[0:1], v[20:21], v[0:1]
	v_add_f64 v[2:3], v[22:23], v[2:3]
	v_fma_f64 v[6:7], v[67:68], s[2:3], -v[101:102]
	v_add_f64 v[75:76], v[42:43], -v[18:19]
	v_mul_f64 v[83:84], v[69:70], s[14:15]
	v_add_f64 v[73:74], v[18:19], v[42:43]
	v_mul_f64 v[107:108], v[81:82], s[18:19]
	v_add_f64 v[77:78], v[24:25], v[36:37]
	v_add_f64 v[89:90], v[36:37], -v[24:25]
	v_add_f64 v[103:104], v[20:21], v[103:104]
	v_fma_f64 v[111:112], v[63:64], s[18:19], v[123:124]
	v_add_f64 v[109:110], v[22:23], v[109:110]
	v_fma_f64 v[115:116], v[67:68], s[14:15], -v[133:134]
	v_mul_f64 v[121:122], v[69:70], s[6:7]
	v_mul_f64 v[127:128], v[81:82], s[36:37]
	s_mov_b32 s28, 0x8764f0ba
	s_mov_b32 s30, 0xf8bb580b
	;; [unrolled: 1-line block ×6, first 2 shown]
	v_add_f64 v[0:1], v[4:5], v[0:1]
	v_add_f64 v[2:3], v[6:7], v[2:3]
	v_fma_f64 v[4:5], v[75:76], s[18:19], v[83:84]
	v_fma_f64 v[6:7], v[73:74], s[14:15], -v[107:108]
	v_add_f64 v[85:86], v[38:39], -v[26:27]
	v_mul_f64 v[93:94], v[77:78], s[22:23]
	v_add_f64 v[79:80], v[26:27], v[38:39]
	v_mul_f64 v[113:114], v[89:90], s[34:35]
	v_add_f64 v[97:98], v[28:29], v[32:33]
	v_add_f64 v[105:106], v[32:33], -v[28:29]
	v_add_f64 v[119:120], v[111:112], v[103:104]
	v_add_f64 v[131:132], v[115:116], v[109:110]
	v_fma_f64 v[139:140], v[75:76], s[36:37], v[121:122]
	v_fma_f64 v[141:142], v[73:74], s[6:7], -v[127:128]
	v_mul_f64 v[125:126], v[77:78], s[28:29]
	v_mul_f64 v[135:136], v[89:90], s[30:31]
	s_mov_b32 s39, 0x3fe14ced
	s_mov_b32 s38, s30
	v_add_f64 v[0:1], v[4:5], v[0:1]
	v_add_f64 v[2:3], v[6:7], v[2:3]
	v_fma_f64 v[4:5], v[85:86], s[34:35], v[93:94]
	v_fma_f64 v[6:7], v[79:80], s[22:23], -v[113:114]
	v_add_f64 v[109:110], v[34:35], -v[30:31]
	v_mul_f64 v[111:112], v[97:98], s[28:29]
	v_add_f64 v[103:104], v[30:31], v[34:35]
	v_mul_f64 v[115:116], v[105:106], s[38:39]
	v_add_f64 v[139:140], v[139:140], v[119:120]
	v_add_f64 v[141:142], v[141:142], v[131:132]
	v_fma_f64 v[143:144], v[85:86], s[30:31], v[125:126]
	v_fma_f64 v[145:146], v[79:80], s[28:29], -v[135:136]
	v_mul_f64 v[119:120], v[97:98], s[2:3]
	v_mul_f64 v[131:132], v[105:106], s[16:17]
	v_add_f64 v[0:1], v[4:5], v[0:1]
	v_add_f64 v[2:3], v[6:7], v[2:3]
	v_fma_f64 v[4:5], v[109:110], s[38:39], v[111:112]
	v_fma_f64 v[6:7], v[103:104], s[28:29], -v[115:116]
	v_add_f64 v[139:140], v[143:144], v[139:140]
	v_add_f64 v[141:142], v[145:146], v[141:142]
	v_fma_f64 v[143:144], v[109:110], s[16:17], v[119:120]
	v_fma_f64 v[145:146], v[103:104], s[2:3], -v[131:132]
	s_mov_b32 s0, 0xcccccccd
	v_mul_hi_u32 v147, v56, s0
	v_add_f64 v[4:5], v[4:5], v[0:1]
	v_add_f64 v[6:7], v[6:7], v[2:3]
	v_cmp_gt_u32_e64 s[0:1], 18, v138
	v_add_f64 v[0:1], v[143:144], v[139:140]
	v_add_f64 v[2:3], v[145:146], v[141:142]
	v_lshrrev_b32_e32 v139, 2, v147
	v_lshl_add_u32 v139, v139, 2, v139
	v_sub_u32_e32 v56, v56, v139
	v_mul_u32_u24_e32 v56, 0xc6, v56
	v_lshlrev_b32_e32 v56, 4, v56
	s_and_saveexec_b64 s[26:27], s[0:1]
	s_cbranch_execz .LBB0_14
; %bb.13:
	v_mul_f64 v[161:162], v[63:64], s[18:19]
	v_mul_f64 v[163:164], v[75:76], s[18:19]
	s_mov_b32 s19, 0xbfd207e7
	v_mul_f64 v[139:140], v[87:88], s[18:19]
	v_mul_f64 v[141:142], v[59:60], s[18:19]
	;; [unrolled: 1-line block ×8, first 2 shown]
	v_fma_f64 v[145:146], v[65:66], s[14:15], -v[139:140]
	v_fma_f64 v[181:182], v[57:58], s[14:15], v[141:142]
	v_fma_f64 v[185:186], v[67:68], s[28:29], -v[143:144]
	v_fma_f64 v[139:140], v[65:66], s[14:15], v[139:140]
	v_fma_f64 v[191:192], v[61:62], s[28:29], v[149:150]
	v_fma_f64 v[195:196], v[73:74], s[2:3], -v[183:184]
	v_fma_f64 v[143:144], v[67:68], s[28:29], v[143:144]
	v_fma_f64 v[197:198], v[69:70], s[2:3], v[189:190]
	v_add_f64 v[145:146], v[22:23], v[145:146]
	v_add_f64 v[181:182], v[20:21], v[181:182]
	v_fma_f64 v[199:200], v[79:80], s[6:7], -v[193:194]
	v_add_f64 v[139:140], v[22:23], v[139:140]
	v_fma_f64 v[183:184], v[73:74], s[2:3], v[183:184]
	v_fma_f64 v[193:194], v[79:80], s[6:7], v[193:194]
	v_fma_f64 v[205:206], v[57:58], s[14:15], -v[141:142]
	v_fma_f64 v[149:150], v[61:62], s[28:29], -v[149:150]
	v_add_f64 v[145:146], v[185:186], v[145:146]
	v_mul_f64 v[185:186], v[85:86], s[36:37]
	v_add_f64 v[181:182], v[191:192], v[181:182]
	v_mul_f64 v[191:192], v[105:106], s[24:25]
	;; [unrolled: 2-line block ×3, first 2 shown]
	v_add_f64 v[205:206], v[20:21], v[205:206]
	v_fma_f64 v[189:190], v[69:70], s[2:3], -v[189:190]
	v_add_f64 v[145:146], v[195:196], v[145:146]
	v_fma_f64 v[195:196], v[77:78], s[6:7], v[185:186]
	v_add_f64 v[181:182], v[197:198], v[181:182]
	v_fma_f64 v[203:204], v[103:104], s[22:23], -v[191:192]
	v_add_f64 v[139:140], v[183:184], v[139:140]
	v_fma_f64 v[183:184], v[97:98], s[22:23], v[143:144]
	v_fma_f64 v[191:192], v[103:104], s[22:23], v[191:192]
	v_add_f64 v[149:150], v[149:150], v[205:206]
	v_add_f64 v[145:146], v[199:200], v[145:146]
	v_mul_f64 v[199:200], v[87:88], s[16:17]
	v_add_f64 v[181:182], v[195:196], v[181:182]
	v_mul_f64 v[213:214], v[89:90], s[18:19]
	v_add_f64 v[193:194], v[193:194], v[139:140]
	v_fma_f64 v[215:216], v[73:74], s[28:29], -v[207:208]
	v_fma_f64 v[185:186], v[77:78], s[6:7], -v[185:186]
	v_add_f64 v[149:150], v[189:190], v[149:150]
	v_add_f64 v[141:142], v[203:204], v[145:146]
	v_mul_f64 v[203:204], v[59:60], s[16:17]
	v_add_f64 v[139:140], v[183:184], v[181:182]
	v_mul_f64 v[181:182], v[71:72], s[34:35]
	v_fma_f64 v[183:184], v[65:66], s[2:3], -v[199:200]
	v_add_f64 v[145:146], v[191:192], v[193:194]
	v_mul_f64 v[191:192], v[63:64], s[34:35]
	v_fma_f64 v[217:218], v[79:80], s[14:15], -v[213:214]
	v_mul_f64 v[147:148], v[65:66], s[22:23]
	v_fma_f64 v[193:194], v[57:58], s[2:3], v[203:204]
	v_fma_f64 v[143:144], v[97:98], s[22:23], -v[143:144]
	v_fma_f64 v[209:210], v[67:68], s[22:23], -v[181:182]
	v_add_f64 v[183:184], v[22:23], v[183:184]
	v_add_f64 v[149:150], v[185:186], v[149:150]
	v_fma_f64 v[211:212], v[61:62], s[22:23], v[191:192]
	v_fma_f64 v[203:204], v[57:58], s[2:3], -v[203:204]
	v_mul_f64 v[155:156], v[59:60], s[24:25]
	v_add_f64 v[193:194], v[20:21], v[193:194]
	v_mul_f64 v[165:166], v[67:68], s[14:15]
	v_mul_f64 v[205:206], v[75:76], s[30:31]
	v_add_f64 v[183:184], v[209:210], v[183:184]
	v_add_f64 v[143:144], v[143:144], v[149:150]
	;; [unrolled: 1-line block ×3, first 2 shown]
	v_mul_f64 v[153:154], v[65:66], s[6:7]
	v_mul_f64 v[171:172], v[73:74], s[6:7]
	v_add_f64 v[193:194], v[211:212], v[193:194]
	v_mul_f64 v[211:212], v[105:106], s[36:37]
	v_mul_f64 v[189:190], v[85:86], s[18:19]
	v_add_f64 v[183:184], v[215:216], v[183:184]
	v_add_f64 v[133:134], v[165:166], v[133:134]
	;; [unrolled: 1-line block ×3, first 2 shown]
	v_add_f64 v[117:118], v[117:118], -v[155:156]
	v_fma_f64 v[155:156], v[69:70], s[28:29], -v[205:206]
	v_add_f64 v[50:51], v[50:51], v[22:23]
	v_fma_f64 v[185:186], v[103:104], s[6:7], -v[211:212]
	v_add_f64 v[48:49], v[48:49], v[20:21]
	v_add_f64 v[183:184], v[217:218], v[183:184]
	v_mul_f64 v[159:160], v[67:68], s[2:3]
	v_mul_f64 v[215:216], v[109:110], s[36:37]
	v_add_f64 v[127:128], v[171:172], v[127:128]
	v_add_f64 v[129:130], v[133:134], v[129:130]
	v_add_f64 v[123:124], v[123:124], -v[161:162]
	v_add_f64 v[117:118], v[20:21], v[117:118]
	v_fma_f64 v[133:134], v[77:78], s[14:15], -v[189:190]
	v_add_f64 v[149:150], v[185:186], v[183:184]
	v_fma_f64 v[185:186], v[61:62], s[22:23], -v[191:192]
	v_add_f64 v[191:192], v[20:21], v[203:204]
	v_add_f64 v[99:100], v[153:154], v[99:100]
	;; [unrolled: 1-line block ×4, first 2 shown]
	v_mul_f64 v[167:168], v[73:74], s[14:15]
	v_add_f64 v[127:128], v[127:128], v[129:130]
	v_add_f64 v[117:118], v[123:124], v[117:118]
	v_fma_f64 v[123:124], v[97:98], s[6:7], -v[215:216]
	v_add_f64 v[185:186], v[185:186], v[191:192]
	v_add_f64 v[153:154], v[22:23], v[99:100]
	v_mul_f64 v[169:170], v[75:76], s[36:37]
	v_add_f64 v[42:43], v[42:43], v[46:47]
	v_add_f64 v[40:41], v[40:41], v[48:49]
	v_mul_f64 v[175:176], v[79:80], s[22:23]
	v_add_f64 v[107:108], v[167:168], v[107:108]
	v_mul_f64 v[87:88], v[87:88], s[30:31]
	;; [unrolled: 2-line block ×3, first 2 shown]
	v_add_f64 v[121:122], v[121:122], -v[169:170]
	v_add_f64 v[38:39], v[38:39], v[42:43]
	v_add_f64 v[36:37], v[36:37], v[40:41]
	;; [unrolled: 1-line block ×3, first 2 shown]
	v_mul_f64 v[71:72], v[71:72], s[8:9]
	v_mul_f64 v[40:41], v[59:60], s[30:31]
	v_add_f64 v[129:130], v[133:134], v[155:156]
	v_add_f64 v[133:134], v[159:160], v[101:102]
	v_mul_f64 v[157:158], v[63:64], s[16:17]
	v_add_f64 v[117:118], v[121:122], v[117:118]
	v_add_f64 v[121:122], v[95:96], -v[151:152]
	v_add_f64 v[34:35], v[34:35], v[38:39]
	v_add_f64 v[32:33], v[32:33], v[36:37]
	v_fma_f64 v[199:200], v[65:66], s[2:3], v[199:200]
	v_add_f64 v[99:100], v[123:124], v[129:130]
	v_add_f64 v[123:124], v[133:134], v[153:154]
	v_mul_f64 v[81:82], v[81:82], s[24:25]
	v_fma_f64 v[50:51], v[67:68], s[6:7], -v[71:72]
	v_fma_f64 v[59:60], v[65:66], s[28:29], v[87:88]
	v_mul_f64 v[63:64], v[63:64], s[8:9]
	v_fma_f64 v[36:37], v[57:58], s[28:29], -v[40:41]
	v_add_f64 v[91:92], v[91:92], -v[157:158]
	v_add_f64 v[121:122], v[20:21], v[121:122]
	v_add_f64 v[107:108], v[107:108], v[123:124]
	v_fma_f64 v[123:124], v[65:66], s[28:29], -v[87:88]
	v_fma_f64 v[40:41], v[57:58], s[28:29], v[40:41]
	v_add_f64 v[30:31], v[30:31], v[34:35]
	v_add_f64 v[28:29], v[28:29], v[32:33]
	;; [unrolled: 1-line block ×3, first 2 shown]
	v_fma_f64 v[46:47], v[73:74], s[22:23], -v[81:82]
	v_mul_f64 v[38:39], v[75:76], s[24:25]
	v_add_f64 v[107:108], v[113:114], v[107:108]
	v_add_f64 v[113:114], v[22:23], v[123:124]
	v_fma_f64 v[57:58], v[67:68], s[6:7], v[71:72]
	v_add_f64 v[22:23], v[22:23], v[59:60]
	v_fma_f64 v[59:60], v[61:62], s[6:7], -v[63:64]
	v_add_f64 v[32:33], v[20:21], v[36:37]
	v_fma_f64 v[181:182], v[67:68], s[22:23], v[181:182]
	v_mul_f64 v[173:174], v[85:86], s[34:35]
	v_add_f64 v[83:84], v[83:84], -v[163:164]
	v_add_f64 v[48:49], v[50:51], v[113:114]
	v_add_f64 v[91:92], v[91:92], v[121:122]
	v_fma_f64 v[34:35], v[61:62], s[6:7], v[63:64]
	v_add_f64 v[20:21], v[20:21], v[40:41]
	v_add_f64 v[26:27], v[26:27], v[30:31]
	;; [unrolled: 1-line block ×3, first 2 shown]
	v_mul_f64 v[89:90], v[89:90], s[16:17]
	v_fma_f64 v[36:37], v[73:74], s[22:23], v[81:82]
	v_add_f64 v[42:43], v[46:47], v[48:49]
	v_mul_f64 v[48:49], v[85:86], s[16:17]
	v_add_f64 v[22:23], v[57:58], v[22:23]
	v_fma_f64 v[40:41], v[69:70], s[22:23], -v[38:39]
	v_add_f64 v[28:29], v[59:60], v[32:33]
	v_mul_f64 v[177:178], v[85:86], s[30:31]
	v_mul_f64 v[179:180], v[79:80], s[28:29]
	v_fma_f64 v[183:184], v[73:74], s[28:29], v[207:208]
	v_add_f64 v[181:182], v[181:182], v[199:200]
	v_fma_f64 v[209:210], v[69:70], s[28:29], v[205:206]
	v_add_f64 v[93:94], v[93:94], -v[173:174]
	v_add_f64 v[83:84], v[83:84], v[91:92]
	v_fma_f64 v[30:31], v[69:70], s[22:23], v[38:39]
	v_add_f64 v[20:21], v[34:35], v[20:21]
	v_add_f64 v[18:19], v[18:19], v[26:27]
	;; [unrolled: 1-line block ×3, first 2 shown]
	v_mul_f64 v[91:92], v[105:106], s[18:19]
	v_mul_f64 v[46:47], v[109:110], s[18:19]
	v_fma_f64 v[32:33], v[79:80], s[2:3], v[89:90]
	v_add_f64 v[22:23], v[36:37], v[22:23]
	v_fma_f64 v[34:35], v[77:78], s[2:3], -v[48:49]
	v_add_f64 v[24:25], v[40:41], v[28:29]
	v_mul_f64 v[187:188], v[109:110], s[38:39]
	v_mul_f64 v[197:198], v[103:104], s[28:29]
	;; [unrolled: 1-line block ×4, first 2 shown]
	v_add_f64 v[135:136], v[179:180], v[135:136]
	v_add_f64 v[125:126], v[125:126], -v[177:178]
	v_fma_f64 v[165:166], v[79:80], s[14:15], v[213:214]
	v_add_f64 v[181:182], v[183:184], v[181:182]
	v_fma_f64 v[219:220], v[77:78], s[14:15], v[189:190]
	v_add_f64 v[193:194], v[209:210], v[193:194]
	v_add_f64 v[83:84], v[93:94], v[83:84]
	v_fma_f64 v[93:94], v[79:80], s[2:3], -v[89:90]
	v_fma_f64 v[26:27], v[77:78], s[2:3], v[48:49]
	v_add_f64 v[20:21], v[30:31], v[20:21]
	v_add_f64 v[14:15], v[14:15], v[18:19]
	;; [unrolled: 1-line block ×3, first 2 shown]
	v_fma_f64 v[28:29], v[103:104], s[14:15], v[91:92]
	v_add_f64 v[22:23], v[32:33], v[22:23]
	v_fma_f64 v[30:31], v[97:98], s[14:15], -v[46:47]
	v_add_f64 v[24:25], v[34:35], v[24:25]
	v_add_f64 v[115:116], v[197:198], v[115:116]
	v_add_f64 v[50:51], v[111:112], -v[187:188]
	v_add_f64 v[131:132], v[195:196], v[131:132]
	v_add_f64 v[127:128], v[135:136], v[127:128]
	v_add_f64 v[119:120], v[119:120], -v[201:202]
	v_add_f64 v[117:118], v[125:126], v[117:118]
	v_fma_f64 v[183:184], v[103:104], s[6:7], v[211:212]
	v_add_f64 v[161:162], v[165:166], v[181:182]
	v_fma_f64 v[209:210], v[97:98], s[6:7], v[215:216]
	v_add_f64 v[193:194], v[219:220], v[193:194]
	v_fma_f64 v[32:33], v[103:104], s[14:15], -v[91:92]
	v_add_f64 v[34:35], v[93:94], v[42:43]
	v_fma_f64 v[36:37], v[97:98], s[14:15], v[46:47]
	v_add_f64 v[26:27], v[26:27], v[20:21]
	v_add_f64 v[16:17], v[10:11], v[14:15]
	;; [unrolled: 1-line block ×10, first 2 shown]
	v_mul_u32_u24_e32 v8, 0xb0, v138
	v_add_f64 v[147:148], v[209:210], v[193:194]
	v_add3_u32 v8, 0, v8, v56
	v_add_f64 v[20:21], v[32:33], v[34:35]
	v_add_f64 v[18:19], v[36:37], v[26:27]
	ds_write_b128 v8, v[14:17]
	ds_write_b128 v8, v[10:13] offset:16
	ds_write_b128 v8, v[42:45] offset:32
	;; [unrolled: 1-line block ×10, first 2 shown]
.LBB0_14:
	s_or_b64 exec, exec, s[26:27]
	v_lshlrev_b32_e32 v8, 4, v138
	v_add3_u32 v40, 0, v56, v8
	s_waitcnt lgkmcnt(0)
	s_barrier
	v_add3_u32 v41, 0, v8, v56
	ds_read_b128 v[8:11], v40
	ds_read_b128 v[12:15], v41 offset:352
	ds_read_b128 v[28:31], v41 offset:1584
	;; [unrolled: 1-line block ×7, first 2 shown]
	v_cmp_gt_u32_e64 s[0:1], 11, v138
	s_and_saveexec_b64 s[2:3], s[0:1]
	s_cbranch_execz .LBB0_16
; %bb.15:
	ds_read_b128 v[0:3], v41 offset:1408
	ds_read_b128 v[4:7], v41 offset:2992
.LBB0_16:
	s_or_b64 exec, exec, s[2:3]
	v_add_u32_e32 v42, -11, v138
	v_cndmask_b32_e64 v65, v42, v138, s[0:1]
	v_mov_b32_e32 v66, 0
	v_lshlrev_b64 v[42:43], 4, v[65:66]
	v_mov_b32_e32 v44, s13
	v_add_co_u32_e64 v57, s[2:3], s12, v42
	v_add_u16_e32 v42, 22, v138
	s_movk_i32 s6, 0x75
	v_addc_co_u32_e64 v58, s[2:3], v44, v43, s[2:3]
	v_mul_lo_u16_sdwa v43, v42, s6 dst_sel:DWORD dst_unused:UNUSED_PAD src0_sel:BYTE_0 src1_sel:DWORD
	v_sub_u16_sdwa v44, v42, v43 dst_sel:DWORD dst_unused:UNUSED_PAD src0_sel:DWORD src1_sel:BYTE_1
	v_lshrrev_b16_e32 v44, 1, v44
	v_and_b32_e32 v44, 0x7f, v44
	v_add_u16_sdwa v43, v44, v43 dst_sel:DWORD dst_unused:UNUSED_PAD src0_sel:DWORD src1_sel:BYTE_1
	v_lshrrev_b16_e32 v51, 3, v43
	v_mul_lo_u16_e32 v43, 11, v51
	v_sub_u16_e32 v43, v42, v43
	v_mov_b32_e32 v42, 4
	v_lshlrev_b32_sdwa v66, v42, v43 dst_sel:DWORD dst_unused:UNUSED_PAD src0_sel:DWORD src1_sel:BYTE_0
	global_load_dwordx4 v[43:46], v[57:58], off
	global_load_dwordx4 v[47:50], v66, s[12:13]
	v_add_u16_e32 v57, 44, v138
	v_mul_lo_u16_sdwa v58, v57, s6 dst_sel:DWORD dst_unused:UNUSED_PAD src0_sel:BYTE_0 src1_sel:DWORD
	v_sub_u16_sdwa v59, v57, v58 dst_sel:DWORD dst_unused:UNUSED_PAD src0_sel:DWORD src1_sel:BYTE_1
	v_lshrrev_b16_e32 v59, 1, v59
	v_and_b32_e32 v59, 0x7f, v59
	v_add_u16_sdwa v58, v59, v58 dst_sel:DWORD dst_unused:UNUSED_PAD src0_sel:DWORD src1_sel:BYTE_1
	v_lshrrev_b16_e32 v67, 3, v58
	v_mul_lo_u16_e32 v58, 11, v67
	v_sub_u16_e32 v57, v57, v58
	v_lshlrev_b32_sdwa v68, v42, v57 dst_sel:DWORD dst_unused:UNUSED_PAD src0_sel:DWORD src1_sel:BYTE_0
	v_add_u16_e32 v57, 0x42, v138
	v_mul_lo_u16_sdwa v58, v57, s6 dst_sel:DWORD dst_unused:UNUSED_PAD src0_sel:BYTE_0 src1_sel:DWORD
	v_sub_u16_sdwa v59, v57, v58 dst_sel:DWORD dst_unused:UNUSED_PAD src0_sel:DWORD src1_sel:BYTE_1
	v_lshrrev_b16_e32 v59, 1, v59
	v_and_b32_e32 v59, 0x7f, v59
	v_add_u16_sdwa v58, v59, v58 dst_sel:DWORD dst_unused:UNUSED_PAD src0_sel:DWORD src1_sel:BYTE_1
	v_lshrrev_b16_e32 v69, 3, v58
	v_mul_lo_u16_e32 v58, 11, v69
	v_sub_u16_e32 v61, v57, v58
	global_load_dwordx4 v[57:60], v68, s[12:13]
	v_lshlrev_b32_sdwa v73, v42, v61 dst_sel:DWORD dst_unused:UNUSED_PAD src0_sel:DWORD src1_sel:BYTE_0
	global_load_dwordx4 v[61:64], v73, s[12:13]
	v_mov_b32_e32 v70, 0x160
	v_cmp_lt_u32_e64 s[2:3], 10, v138
	v_cndmask_b32_e64 v70, 0, v70, s[2:3]
	s_movk_i32 s7, 0x160
	v_add_u32_e32 v70, 0, v70
	v_lshlrev_b32_e32 v65, 4, v65
	v_add3_u32 v74, v70, v65, v56
	v_mad_u32_u24 v51, v51, s7, 0
	v_mad_u32_u24 v65, v67, s7, 0
	v_add3_u32 v51, v51, v66, v56
	v_add3_u32 v76, v65, v68, v56
	v_mad_u32_u24 v75, v69, s7, 0
	s_waitcnt vmcnt(0) lgkmcnt(0)
	s_barrier
	v_mul_f64 v[65:66], v[30:31], v[45:46]
	v_mul_f64 v[45:46], v[28:29], v[45:46]
	v_mul_f64 v[67:68], v[26:27], v[49:50]
	v_mul_f64 v[49:50], v[24:25], v[49:50]
	v_fma_f64 v[28:29], v[28:29], v[43:44], -v[65:66]
	v_fma_f64 v[30:31], v[30:31], v[43:44], v[45:46]
	v_fma_f64 v[43:44], v[24:25], v[47:48], -v[67:68]
	v_fma_f64 v[45:46], v[26:27], v[47:48], v[49:50]
	v_add_f64 v[24:25], v[8:9], -v[28:29]
	v_add_f64 v[26:27], v[10:11], -v[30:31]
	;; [unrolled: 1-line block ×4, first 2 shown]
	v_add3_u32 v43, v75, v73, v56
	v_mul_f64 v[69:70], v[38:39], v[59:60]
	v_mul_f64 v[59:60], v[36:37], v[59:60]
	;; [unrolled: 1-line block ×4, first 2 shown]
	v_fma_f64 v[8:9], v[8:9], 2.0, -v[24:25]
	v_fma_f64 v[10:11], v[10:11], 2.0, -v[26:27]
	;; [unrolled: 1-line block ×4, first 2 shown]
	v_fma_f64 v[36:37], v[36:37], v[57:58], -v[69:70]
	v_fma_f64 v[38:39], v[38:39], v[57:58], v[59:60]
	v_fma_f64 v[47:48], v[32:33], v[61:62], -v[71:72]
	v_fma_f64 v[49:50], v[34:35], v[61:62], v[63:64]
	v_add_f64 v[32:33], v[16:17], -v[36:37]
	v_add_f64 v[34:35], v[18:19], -v[38:39]
	v_add_f64 v[36:37], v[20:21], -v[47:48]
	v_add_f64 v[38:39], v[22:23], -v[49:50]
	v_fma_f64 v[16:17], v[16:17], 2.0, -v[32:33]
	v_fma_f64 v[18:19], v[18:19], 2.0, -v[34:35]
	;; [unrolled: 1-line block ×4, first 2 shown]
	ds_write_b128 v74, v[24:27] offset:176
	ds_write_b128 v74, v[8:11]
	ds_write_b128 v51, v[28:31] offset:176
	ds_write_b128 v51, v[12:15]
	ds_write_b128 v76, v[16:19]
	ds_write_b128 v76, v[32:35] offset:176
	ds_write_b128 v43, v[20:23]
	ds_write_b128 v43, v[36:39] offset:176
	s_and_saveexec_b64 s[2:3], s[0:1]
	s_cbranch_execz .LBB0_18
; %bb.17:
	v_add_u16_e32 v8, 0x58, v138
	v_mul_lo_u16_sdwa v9, v8, s6 dst_sel:DWORD dst_unused:UNUSED_PAD src0_sel:BYTE_0 src1_sel:DWORD
	v_sub_u16_sdwa v10, v8, v9 dst_sel:DWORD dst_unused:UNUSED_PAD src0_sel:DWORD src1_sel:BYTE_1
	v_lshrrev_b16_e32 v10, 1, v10
	v_and_b32_e32 v10, 0x7f, v10
	v_add_u16_sdwa v9, v10, v9 dst_sel:DWORD dst_unused:UNUSED_PAD src0_sel:DWORD src1_sel:BYTE_1
	v_lshrrev_b16_e32 v9, 3, v9
	v_mul_lo_u16_e32 v9, 11, v9
	v_sub_u16_e32 v8, v8, v9
	v_lshlrev_b32_sdwa v14, v42, v8 dst_sel:DWORD dst_unused:UNUSED_PAD src0_sel:DWORD src1_sel:BYTE_0
	global_load_dwordx4 v[8:11], v14, s[12:13]
	s_waitcnt vmcnt(0)
	v_mul_f64 v[12:13], v[4:5], v[10:11]
	v_mul_f64 v[10:11], v[6:7], v[10:11]
	v_fma_f64 v[6:7], v[6:7], v[8:9], v[12:13]
	v_fma_f64 v[4:5], v[4:5], v[8:9], -v[10:11]
	v_add3_u32 v8, 0, v14, v56
	v_add_f64 v[6:7], v[2:3], -v[6:7]
	v_add_f64 v[4:5], v[0:1], -v[4:5]
	v_fma_f64 v[2:3], v[2:3], 2.0, -v[6:7]
	v_fma_f64 v[0:1], v[0:1], 2.0, -v[4:5]
	ds_write_b128 v8, v[0:3] offset:2816
	ds_write_b128 v8, v[4:7] offset:2992
.LBB0_18:
	s_or_b64 exec, exec, s[2:3]
	s_waitcnt lgkmcnt(0)
	s_barrier
	s_and_saveexec_b64 s[0:1], vcc
	s_cbranch_execz .LBB0_20
; %bb.19:
	v_lshlrev_b32_e32 v0, 3, v138
	v_mov_b32_e32 v1, 0
	v_lshlrev_b64 v[0:1], 4, v[0:1]
	v_mov_b32_e32 v2, s13
	v_add_co_u32_e32 v32, vcc, s12, v0
	v_addc_co_u32_e32 v33, vcc, v2, v1, vcc
	global_load_dwordx4 v[0:3], v[32:33], off offset:208
	global_load_dwordx4 v[4:7], v[32:33], off offset:256
	;; [unrolled: 1-line block ×8, first 2 shown]
	v_mul_lo_u32 v74, s5, v54
	v_mul_lo_u32 v75, s4, v55
	v_mad_u64_u32 v[50:51], s[0:1], s4, v54, 0
	ds_read_b128 v[32:35], v41 offset:1056
	ds_read_b128 v[36:39], v41 offset:704
	ds_read_b128 v[42:45], v41 offset:2112
	ds_read_b128 v[46:49], v41 offset:2464
	ds_read_b128 v[54:57], v41 offset:1408
	ds_read_b128 v[58:61], v41 offset:1760
	ds_read_b128 v[62:65], v41 offset:2816
	ds_read_b128 v[66:69], v41 offset:352
	ds_read_b128 v[70:73], v40
	v_add3_u32 v51, v51, v75, v74
	s_mov_b32 s2, 0x8c811c17
	s_mov_b32 s3, 0x3fef838b
	s_mov_b32 s14, 0xa2cf5039
	s_mov_b32 s15, 0x3fe8836f
	s_mov_b32 s5, 0xbfe491b7
	s_mov_b32 s4, 0x523c161c
	s_mov_b32 s8, 0x7e0b738b
	s_mov_b32 s9, 0x3fc63a1a
	s_mov_b32 s0, 0xe8584cab
	s_mov_b32 s1, 0x3febb67a
	s_mov_b32 s6, 0x748a0bf8
	s_mov_b32 s7, 0x3fd5e3a8
	s_mov_b32 s12, 0x42522d1b
	s_mov_b32 s13, 0xbfee11f6
	s_mov_b32 s17, 0xbfebb67a
	s_mov_b32 s16, s0
	s_waitcnt vmcnt(7) lgkmcnt(8)
	v_mul_f64 v[40:41], v[2:3], v[34:35]
	s_waitcnt vmcnt(6) lgkmcnt(6)
	v_mul_f64 v[74:75], v[6:7], v[44:45]
	s_waitcnt vmcnt(5)
	v_mul_f64 v[76:77], v[10:11], v[38:39]
	s_waitcnt vmcnt(4) lgkmcnt(5)
	v_mul_f64 v[78:79], v[14:15], v[48:49]
	s_waitcnt vmcnt(3) lgkmcnt(4)
	;; [unrolled: 2-line block ×4, first 2 shown]
	v_mul_f64 v[84:85], v[26:27], v[68:69]
	s_waitcnt vmcnt(0)
	v_mul_f64 v[86:87], v[30:31], v[64:65]
	v_mul_f64 v[56:57], v[16:17], v[56:57]
	;; [unrolled: 1-line block ×9, first 2 shown]
	v_fma_f64 v[16:17], v[16:17], v[54:55], -v[80:81]
	v_fma_f64 v[20:21], v[20:21], v[58:59], -v[82:83]
	;; [unrolled: 1-line block ×6, first 2 shown]
	v_fma_f64 v[18:19], v[54:55], v[18:19], v[56:57]
	v_fma_f64 v[22:23], v[58:59], v[22:23], v[60:61]
	;; [unrolled: 1-line block ×6, first 2 shown]
	v_fma_f64 v[0:1], v[0:1], v[32:33], -v[40:41]
	v_fma_f64 v[4:5], v[4:5], v[42:43], -v[74:75]
	v_fma_f64 v[26:27], v[66:67], v[26:27], v[68:69]
	v_fma_f64 v[30:31], v[62:63], v[30:31], v[64:65]
	v_add_f64 v[36:37], v[16:17], -v[20:21]
	v_add_f64 v[42:43], v[10:11], v[14:15]
	v_add_f64 v[56:57], v[18:19], -v[22:23]
	v_add_f64 v[44:45], v[2:3], v[6:7]
	v_add_f64 v[48:49], v[2:3], -v[6:7]
	v_add_f64 v[58:59], v[8:9], v[12:13]
	v_add_f64 v[2:3], v[24:25], v[28:29]
	v_add_f64 v[32:33], v[0:1], -v[4:5]
	v_add_f64 v[34:35], v[8:9], -v[12:13]
	v_add_f64 v[46:47], v[26:27], v[30:31]
	v_add_f64 v[4:5], v[0:1], v[4:5]
	v_mul_f64 v[0:1], v[36:37], s[2:3]
	v_add_f64 v[38:39], v[24:25], -v[28:29]
	v_add_f64 v[40:41], v[18:19], v[22:23]
	v_add_f64 v[54:55], v[10:11], -v[14:15]
	v_add_f64 v[6:7], v[26:27], -v[30:31]
	v_add_f64 v[24:25], v[16:17], v[20:21]
	s_waitcnt lgkmcnt(0)
	v_fma_f64 v[8:9], v[42:43], s[14:15], v[72:73]
	v_mul_f64 v[10:11], v[56:57], s[2:3]
	v_fma_f64 v[12:13], v[58:59], s[14:15], v[70:71]
	v_add_f64 v[26:27], v[58:59], v[2:3]
	v_add_f64 v[14:15], v[42:43], v[46:47]
	v_fma_f64 v[0:1], v[34:35], s[4:5], -v[0:1]
	v_mul_f64 v[64:65], v[36:37], s[4:5]
	v_add_f64 v[28:29], v[36:37], v[38:39]
	v_fma_f64 v[8:9], v[40:41], s[8:9], v[8:9]
	v_fma_f64 v[10:11], v[54:55], s[4:5], -v[10:11]
	v_fma_f64 v[12:13], v[24:25], s[8:9], v[12:13]
	v_add_f64 v[82:83], v[4:5], v[26:27]
	v_add_f64 v[80:81], v[44:45], v[14:15]
	v_fma_f64 v[0:1], v[32:33], s[0:1], v[0:1]
	v_add_f64 v[30:31], v[44:45], v[72:73]
	v_fma_f64 v[66:67], v[40:41], s[14:15], v[72:73]
	v_add_f64 v[14:15], v[40:41], v[14:15]
	v_fma_f64 v[8:9], v[44:45], -0.5, v[8:9]
	v_fma_f64 v[10:11], v[48:49], s[0:1], v[10:11]
	v_fma_f64 v[12:13], v[4:5], -0.5, v[12:13]
	v_add_f64 v[16:17], v[16:17], v[82:83]
	v_mul_f64 v[68:69], v[56:57], s[4:5]
	s_mov_b32 s5, 0x3fe491b7
	v_add_f64 v[62:63], v[4:5], v[70:71]
	v_fma_f64 v[76:77], v[46:47], s[14:15], v[72:73]
	v_add_f64 v[26:27], v[24:25], v[26:27]
	v_fma_f64 v[64:65], v[38:39], s[2:3], v[64:65]
	;; [unrolled: 2-line block ×3, first 2 shown]
	v_mul_f64 v[38:39], v[38:39], s[4:5]
	v_fma_f64 v[74:75], v[24:25], s[14:15], v[70:71]
	v_fma_f64 v[78:79], v[2:3], s[14:15], v[70:71]
	v_add_f64 v[28:29], v[28:29], -v[34:35]
	v_fma_f64 v[66:67], v[46:47], s[8:9], v[66:67]
	v_fma_f64 v[0:1], v[46:47], s[12:13], v[8:9]
	;; [unrolled: 1-line block ×4, first 2 shown]
	v_fma_f64 v[10:11], v[14:15], -0.5, v[30:31]
	v_add_f64 v[14:15], v[20:21], v[16:17]
	v_mul_f64 v[16:17], v[6:7], s[4:5]
	v_add_f64 v[12:13], v[22:23], v[18:19]
	v_fma_f64 v[18:19], v[26:27], -0.5, v[62:63]
	v_fma_f64 v[22:23], v[34:35], s[2:3], v[38:39]
	v_fma_f64 v[26:27], v[42:43], s[8:9], v[76:77]
	v_add_f64 v[60:61], v[56:57], v[6:7]
	v_fma_f64 v[68:69], v[6:7], s[2:3], v[68:69]
	v_fma_f64 v[74:75], v[2:3], s[8:9], v[74:75]
	v_add_f64 v[2:3], v[0:1], -v[80:81]
	v_add_f64 v[0:1], v[46:47], v[8:9]
	v_mul_f64 v[20:21], v[28:29], s[0:1]
	v_fma_f64 v[6:7], v[28:29], s[16:17], v[10:11]
	v_fma_f64 v[28:29], v[32:33], s[16:17], v[64:65]
	;; [unrolled: 1-line block ×4, first 2 shown]
	v_fma_f64 v[38:39], v[44:45], -0.5, v[66:67]
	v_fma_f64 v[22:23], v[32:33], s[0:1], v[22:23]
	v_fma_f64 v[26:27], v[44:45], -0.5, v[26:27]
	v_add_f64 v[60:61], v[60:61], -v[54:55]
	v_add_f64 v[10:11], v[72:73], v[12:13]
	v_fma_f64 v[12:13], v[46:47], -2.0, v[0:1]
	v_fma_f64 v[46:47], v[48:49], s[16:17], v[68:69]
	v_fma_f64 v[62:63], v[4:5], -0.5, v[74:75]
	v_fma_f64 v[28:29], v[34:35], s[6:7], v[28:29]
	v_fma_f64 v[16:17], v[48:49], s[0:1], v[16:17]
	v_fma_f64 v[4:5], v[4:5], -0.5, v[30:31]
	v_fma_f64 v[30:31], v[42:43], s[12:13], v[38:39]
	v_fma_f64 v[36:37], v[36:37], s[6:7], v[22:23]
	;; [unrolled: 1-line block ×5, first 2 shown]
	v_mul_f64 v[38:39], v[60:61], s[0:1]
	v_fma_f64 v[40:41], v[56:57], s[6:7], v[16:17]
	v_fma_f64 v[24:25], v[24:25], s[12:13], v[4:5]
	;; [unrolled: 1-line block ×3, first 2 shown]
	v_add_f64 v[18:19], v[30:31], -v[28:29]
	v_add_f64 v[26:27], v[26:27], -v[36:37]
	v_mad_u64_u32 v[42:43], s[0:1], s20, v137, 0
	v_add_f64 v[16:17], v[32:33], v[34:35]
	v_fma_f64 v[22:23], v[20:21], 2.0, v[6:7]
	v_add_f64 v[24:25], v[40:41], v[24:25]
	v_fma_f64 v[20:21], v[38:39], -2.0, v[4:5]
	v_fma_f64 v[30:31], v[28:29], 2.0, v[18:19]
	v_mov_b32_e32 v28, v43
	v_mad_u64_u32 v[38:39], s[0:1], s21, v137, v[28:29]
	v_fma_f64 v[34:35], v[36:37], 2.0, v[26:27]
	v_lshlrev_b64 v[36:37], 4, v[50:51]
	v_mov_b32_e32 v43, v38
	v_mov_b32_e32 v38, s11
	v_add_co_u32_e32 v39, vcc, s10, v36
	v_addc_co_u32_e32 v38, vcc, v38, v37, vcc
	v_lshlrev_b64 v[36:37], 4, v[52:53]
	v_fma_f64 v[28:29], v[32:33], -2.0, v[16:17]
	v_fma_f64 v[32:33], v[40:41], -2.0, v[24:25]
	v_add_co_u32_e32 v44, vcc, v39, v36
	v_add_u32_e32 v40, 22, v137
	v_addc_co_u32_e32 v45, vcc, v38, v37, vcc
	v_mad_u64_u32 v[38:39], s[0:1], s20, v40, 0
	v_add_f64 v[8:9], v[70:71], v[14:15]
	v_lshlrev_b64 v[36:37], 4, v[42:43]
	v_mad_u64_u32 v[39:40], s[0:1], s21, v40, v[39:40]
	v_add_u32_e32 v42, 44, v137
	v_mad_u64_u32 v[40:41], s[0:1], s20, v42, 0
	v_add_co_u32_e32 v36, vcc, v44, v36
	v_addc_co_u32_e32 v37, vcc, v45, v37, vcc
	global_store_dwordx4 v[36:37], v[8:11], off
	v_fma_f64 v[14:15], v[80:81], 2.0, v[2:3]
	v_lshlrev_b64 v[8:9], 4, v[38:39]
	v_mov_b32_e32 v10, v41
	v_mad_u64_u32 v[10:11], s[0:1], s21, v42, v[10:11]
	v_add_co_u32_e32 v8, vcc, v44, v8
	v_addc_co_u32_e32 v9, vcc, v45, v9, vcc
	global_store_dwordx4 v[8:9], v[24:27], off
	v_mov_b32_e32 v41, v10
	v_add_u32_e32 v24, 0x42, v137
	v_mad_u64_u32 v[10:11], s[0:1], s20, v24, 0
	v_lshlrev_b64 v[8:9], 4, v[40:41]
	v_add_u32_e32 v27, 0x58, v137
	v_mad_u64_u32 v[24:25], s[0:1], s21, v24, v[11:12]
	v_add_co_u32_e32 v8, vcc, v44, v8
	v_addc_co_u32_e32 v9, vcc, v45, v9, vcc
	v_mov_b32_e32 v11, v24
	v_mad_u64_u32 v[25:26], s[0:1], s20, v27, 0
	global_store_dwordx4 v[8:9], v[16:19], off
	v_lshlrev_b64 v[8:9], 4, v[10:11]
	v_mov_b32_e32 v10, v26
	v_add_co_u32_e32 v8, vcc, v44, v8
	v_addc_co_u32_e32 v9, vcc, v45, v9, vcc
	global_store_dwordx4 v[8:9], v[4:7], off
	v_add_u32_e32 v8, 0x6e, v137
	v_mad_u64_u32 v[10:11], s[0:1], s21, v27, v[10:11]
	v_mad_u64_u32 v[6:7], s[0:1], s20, v8, 0
	v_mov_b32_e32 v26, v10
	v_add_u32_e32 v10, 0x84, v137
	v_mad_u64_u32 v[7:8], s[0:1], s21, v8, v[7:8]
	v_lshlrev_b64 v[4:5], 4, v[25:26]
	v_mad_u64_u32 v[8:9], s[0:1], s20, v10, 0
	v_add_co_u32_e32 v4, vcc, v44, v4
	v_addc_co_u32_e32 v5, vcc, v45, v5, vcc
	global_store_dwordx4 v[4:5], v[0:3], off
	v_add_u32_e32 v4, 0x9a, v137
	v_mov_b32_e32 v2, v9
	v_mad_u64_u32 v[2:3], s[0:1], s21, v10, v[2:3]
	v_lshlrev_b64 v[0:1], 4, v[6:7]
	v_add_u32_e32 v6, 0xb0, v137
	v_mov_b32_e32 v9, v2
	v_mad_u64_u32 v[2:3], s[0:1], s20, v4, 0
	v_add_co_u32_e32 v0, vcc, v44, v0
	v_addc_co_u32_e32 v1, vcc, v45, v1, vcc
	v_mad_u64_u32 v[3:4], s[0:1], s21, v4, v[3:4]
	global_store_dwordx4 v[0:1], v[12:15], off
	v_lshlrev_b64 v[0:1], 4, v[8:9]
	v_mad_u64_u32 v[4:5], s[0:1], s20, v6, 0
	v_add_co_u32_e32 v0, vcc, v44, v0
	v_addc_co_u32_e32 v1, vcc, v45, v1, vcc
	global_store_dwordx4 v[0:1], v[20:23], off
	v_lshlrev_b64 v[0:1], 4, v[2:3]
	v_mov_b32_e32 v2, v5
	v_mad_u64_u32 v[2:3], s[0:1], s21, v6, v[2:3]
	v_add_co_u32_e32 v0, vcc, v44, v0
	v_addc_co_u32_e32 v1, vcc, v45, v1, vcc
	v_mov_b32_e32 v5, v2
	global_store_dwordx4 v[0:1], v[28:31], off
	v_lshlrev_b64 v[0:1], 4, v[4:5]
	v_add_co_u32_e32 v0, vcc, v44, v0
	v_addc_co_u32_e32 v1, vcc, v45, v1, vcc
	global_store_dwordx4 v[0:1], v[32:35], off
.LBB0_20:
	s_endpgm
	.section	.rodata,"a",@progbits
	.p2align	6, 0x0
	.amdhsa_kernel fft_rtc_fwd_len198_factors_11_2_9_wgs_110_tpt_22_dp_op_CI_CI_sbrr_dirReg
		.amdhsa_group_segment_fixed_size 0
		.amdhsa_private_segment_fixed_size 0
		.amdhsa_kernarg_size 104
		.amdhsa_user_sgpr_count 6
		.amdhsa_user_sgpr_private_segment_buffer 1
		.amdhsa_user_sgpr_dispatch_ptr 0
		.amdhsa_user_sgpr_queue_ptr 0
		.amdhsa_user_sgpr_kernarg_segment_ptr 1
		.amdhsa_user_sgpr_dispatch_id 0
		.amdhsa_user_sgpr_flat_scratch_init 0
		.amdhsa_user_sgpr_private_segment_size 0
		.amdhsa_uses_dynamic_stack 0
		.amdhsa_system_sgpr_private_segment_wavefront_offset 0
		.amdhsa_system_sgpr_workgroup_id_x 1
		.amdhsa_system_sgpr_workgroup_id_y 0
		.amdhsa_system_sgpr_workgroup_id_z 0
		.amdhsa_system_sgpr_workgroup_info 0
		.amdhsa_system_vgpr_workitem_id 0
		.amdhsa_next_free_vgpr 221
		.amdhsa_next_free_sgpr 40
		.amdhsa_reserve_vcc 1
		.amdhsa_reserve_flat_scratch 0
		.amdhsa_float_round_mode_32 0
		.amdhsa_float_round_mode_16_64 0
		.amdhsa_float_denorm_mode_32 3
		.amdhsa_float_denorm_mode_16_64 3
		.amdhsa_dx10_clamp 1
		.amdhsa_ieee_mode 1
		.amdhsa_fp16_overflow 0
		.amdhsa_exception_fp_ieee_invalid_op 0
		.amdhsa_exception_fp_denorm_src 0
		.amdhsa_exception_fp_ieee_div_zero 0
		.amdhsa_exception_fp_ieee_overflow 0
		.amdhsa_exception_fp_ieee_underflow 0
		.amdhsa_exception_fp_ieee_inexact 0
		.amdhsa_exception_int_div_zero 0
	.end_amdhsa_kernel
	.text
.Lfunc_end0:
	.size	fft_rtc_fwd_len198_factors_11_2_9_wgs_110_tpt_22_dp_op_CI_CI_sbrr_dirReg, .Lfunc_end0-fft_rtc_fwd_len198_factors_11_2_9_wgs_110_tpt_22_dp_op_CI_CI_sbrr_dirReg
                                        ; -- End function
	.section	.AMDGPU.csdata,"",@progbits
; Kernel info:
; codeLenInByte = 7780
; NumSgprs: 44
; NumVgprs: 221
; ScratchSize: 0
; MemoryBound: 1
; FloatMode: 240
; IeeeMode: 1
; LDSByteSize: 0 bytes/workgroup (compile time only)
; SGPRBlocks: 5
; VGPRBlocks: 55
; NumSGPRsForWavesPerEU: 44
; NumVGPRsForWavesPerEU: 221
; Occupancy: 1
; WaveLimiterHint : 1
; COMPUTE_PGM_RSRC2:SCRATCH_EN: 0
; COMPUTE_PGM_RSRC2:USER_SGPR: 6
; COMPUTE_PGM_RSRC2:TRAP_HANDLER: 0
; COMPUTE_PGM_RSRC2:TGID_X_EN: 1
; COMPUTE_PGM_RSRC2:TGID_Y_EN: 0
; COMPUTE_PGM_RSRC2:TGID_Z_EN: 0
; COMPUTE_PGM_RSRC2:TIDIG_COMP_CNT: 0
	.type	__hip_cuid_b4ff6eb5011aad9b,@object ; @__hip_cuid_b4ff6eb5011aad9b
	.section	.bss,"aw",@nobits
	.globl	__hip_cuid_b4ff6eb5011aad9b
__hip_cuid_b4ff6eb5011aad9b:
	.byte	0                               ; 0x0
	.size	__hip_cuid_b4ff6eb5011aad9b, 1

	.ident	"AMD clang version 19.0.0git (https://github.com/RadeonOpenCompute/llvm-project roc-6.4.0 25133 c7fe45cf4b819c5991fe208aaa96edf142730f1d)"
	.section	".note.GNU-stack","",@progbits
	.addrsig
	.addrsig_sym __hip_cuid_b4ff6eb5011aad9b
	.amdgpu_metadata
---
amdhsa.kernels:
  - .args:
      - .actual_access:  read_only
        .address_space:  global
        .offset:         0
        .size:           8
        .value_kind:     global_buffer
      - .offset:         8
        .size:           8
        .value_kind:     by_value
      - .actual_access:  read_only
        .address_space:  global
        .offset:         16
        .size:           8
        .value_kind:     global_buffer
      - .actual_access:  read_only
        .address_space:  global
        .offset:         24
        .size:           8
        .value_kind:     global_buffer
      - .actual_access:  read_only
        .address_space:  global
        .offset:         32
        .size:           8
        .value_kind:     global_buffer
      - .offset:         40
        .size:           8
        .value_kind:     by_value
      - .actual_access:  read_only
        .address_space:  global
        .offset:         48
        .size:           8
        .value_kind:     global_buffer
      - .actual_access:  read_only
        .address_space:  global
        .offset:         56
        .size:           8
        .value_kind:     global_buffer
      - .offset:         64
        .size:           4
        .value_kind:     by_value
      - .actual_access:  read_only
        .address_space:  global
        .offset:         72
        .size:           8
        .value_kind:     global_buffer
      - .actual_access:  read_only
        .address_space:  global
        .offset:         80
        .size:           8
        .value_kind:     global_buffer
      - .actual_access:  read_only
        .address_space:  global
        .offset:         88
        .size:           8
        .value_kind:     global_buffer
      - .actual_access:  write_only
        .address_space:  global
        .offset:         96
        .size:           8
        .value_kind:     global_buffer
    .group_segment_fixed_size: 0
    .kernarg_segment_align: 8
    .kernarg_segment_size: 104
    .language:       OpenCL C
    .language_version:
      - 2
      - 0
    .max_flat_workgroup_size: 110
    .name:           fft_rtc_fwd_len198_factors_11_2_9_wgs_110_tpt_22_dp_op_CI_CI_sbrr_dirReg
    .private_segment_fixed_size: 0
    .sgpr_count:     44
    .sgpr_spill_count: 0
    .symbol:         fft_rtc_fwd_len198_factors_11_2_9_wgs_110_tpt_22_dp_op_CI_CI_sbrr_dirReg.kd
    .uniform_work_group_size: 1
    .uses_dynamic_stack: false
    .vgpr_count:     221
    .vgpr_spill_count: 0
    .wavefront_size: 64
amdhsa.target:   amdgcn-amd-amdhsa--gfx906
amdhsa.version:
  - 1
  - 2
...

	.end_amdgpu_metadata
